;; amdgpu-corpus repo=GPUOpen-LibrariesAndSDKs/Orochi kind=compiled arch=gfx1100 opt=O3
	.text
	.amdgcn_target "amdgcn-amd-amdhsa--gfx1100"
	.amdhsa_code_object_version 6
	.protected	wmma_matmul             ; -- Begin function wmma_matmul
	.globl	wmma_matmul
	.p2align	8
	.type	wmma_matmul,@function
wmma_matmul:                            ; @wmma_matmul
; %bb.0:
	s_load_b128 s[4:7], s[0:1], 0x0
	v_and_b32_e32 v25, 15, v0
	s_load_b64 s[0:1], s[0:1], 0x10
	v_add_nc_u32_e32 v31, 0xa0, v0
	v_lshlrev_b32_e32 v26, 1, v0
	v_add_nc_u32_e32 v27, 32, v0
	v_lshlrev_b32_e32 v17, 1, v25
	s_waitcnt lgkmcnt(0)
	s_clause 0x7
	global_load_u16 v1, v17, s[6:7]
	global_load_u16 v2, v17, s[6:7] offset:64
	global_load_u16 v3, v17, s[6:7] offset:128
	;; [unrolled: 1-line block ×7, first 2 shown]
	v_lshlrev_b32_e32 v13, 5, v25
	s_clause 0x1
	global_load_b128 v[9:12], v13, s[4:5]
	global_load_b128 v[13:16], v13, s[4:5] offset:16
	s_clause 0x7
	global_load_d16_hi_b16 v1, v17, s[6:7] offset:32
	global_load_d16_hi_b16 v2, v17, s[6:7] offset:96
	;; [unrolled: 1-line block ×8, first 2 shown]
	v_dual_mov_b32 v17, 0 :: v_dual_add_nc_u32 v28, 64, v0
	v_add_nc_u32_e32 v29, 0x60, v0
	v_add_nc_u32_e32 v30, 0x80, v0
	;; [unrolled: 1-line block ×3, first 2 shown]
	s_delay_alu instid0(VALU_DEP_4)
	v_mov_b32_e32 v22, v17
	v_mov_b32_e32 v19, v17
	;; [unrolled: 1-line block ×6, first 2 shown]
	v_dual_mov_b32 v23, v17 :: v_dual_add_nc_u32 v0, 0xe0, v0
	v_and_or_b32 v27, 0x7f0, v27, v25
	v_and_or_b32 v28, 0x7f0, v28, v25
	;; [unrolled: 1-line block ×7, first 2 shown]
	v_lshlrev_b32_e32 v25, 1, v27
	v_lshlrev_b32_e32 v27, 1, v28
	;; [unrolled: 1-line block ×3, first 2 shown]
	s_delay_alu instid0(VALU_DEP_4)
	v_lshlrev_b32_e32 v0, 1, v0
	s_waitcnt vmcnt(0)
	v_wmma_f16_16x16x16_f16 v[17:24], v[9:16], v[1:8], v[17:24]
	v_lshlrev_b32_e32 v1, 1, v30
	v_lshlrev_b32_e32 v2, 1, v31
	;; [unrolled: 1-line block ×3, first 2 shown]
	s_clause 0x7
	global_store_b16 v26, v17, s[0:1]
	global_store_b16 v25, v18, s[0:1]
	;; [unrolled: 1-line block ×8, first 2 shown]
	s_nop 0
	s_sendmsg sendmsg(MSG_DEALLOC_VGPRS)
	s_endpgm
	.section	.rodata,"a",@progbits
	.p2align	6, 0x0
	.amdhsa_kernel wmma_matmul
		.amdhsa_group_segment_fixed_size 0
		.amdhsa_private_segment_fixed_size 0
		.amdhsa_kernarg_size 24
		.amdhsa_user_sgpr_count 15
		.amdhsa_user_sgpr_dispatch_ptr 0
		.amdhsa_user_sgpr_queue_ptr 0
		.amdhsa_user_sgpr_kernarg_segment_ptr 1
		.amdhsa_user_sgpr_dispatch_id 0
		.amdhsa_user_sgpr_private_segment_size 0
		.amdhsa_wavefront_size32 1
		.amdhsa_uses_dynamic_stack 0
		.amdhsa_enable_private_segment 0
		.amdhsa_system_sgpr_workgroup_id_x 1
		.amdhsa_system_sgpr_workgroup_id_y 0
		.amdhsa_system_sgpr_workgroup_id_z 0
		.amdhsa_system_sgpr_workgroup_info 0
		.amdhsa_system_vgpr_workitem_id 0
		.amdhsa_next_free_vgpr 33
		.amdhsa_next_free_sgpr 8
		.amdhsa_reserve_vcc 0
		.amdhsa_float_round_mode_32 0
		.amdhsa_float_round_mode_16_64 0
		.amdhsa_float_denorm_mode_32 3
		.amdhsa_float_denorm_mode_16_64 3
		.amdhsa_dx10_clamp 1
		.amdhsa_ieee_mode 1
		.amdhsa_fp16_overflow 0
		.amdhsa_workgroup_processor_mode 1
		.amdhsa_memory_ordered 1
		.amdhsa_forward_progress 0
		.amdhsa_shared_vgpr_count 0
		.amdhsa_exception_fp_ieee_invalid_op 0
		.amdhsa_exception_fp_denorm_src 0
		.amdhsa_exception_fp_ieee_div_zero 0
		.amdhsa_exception_fp_ieee_overflow 0
		.amdhsa_exception_fp_ieee_underflow 0
		.amdhsa_exception_fp_ieee_inexact 0
		.amdhsa_exception_int_div_zero 0
	.end_amdhsa_kernel
	.text
.Lfunc_end0:
	.size	wmma_matmul, .Lfunc_end0-wmma_matmul
                                        ; -- End function
	.section	.AMDGPU.csdata,"",@progbits
; Kernel info:
; codeLenInByte = 484
; NumSgprs: 8
; NumVgprs: 33
; ScratchSize: 0
; MemoryBound: 0
; FloatMode: 240
; IeeeMode: 1
; LDSByteSize: 0 bytes/workgroup (compile time only)
; SGPRBlocks: 0
; VGPRBlocks: 4
; NumSGPRsForWavesPerEU: 8
; NumVGPRsForWavesPerEU: 33
; Occupancy: 16
; WaveLimiterHint : 0
; COMPUTE_PGM_RSRC2:SCRATCH_EN: 0
; COMPUTE_PGM_RSRC2:USER_SGPR: 15
; COMPUTE_PGM_RSRC2:TRAP_HANDLER: 0
; COMPUTE_PGM_RSRC2:TGID_X_EN: 1
; COMPUTE_PGM_RSRC2:TGID_Y_EN: 0
; COMPUTE_PGM_RSRC2:TGID_Z_EN: 0
; COMPUTE_PGM_RSRC2:TIDIG_COMP_CNT: 0
	.text
	.p2alignl 7, 3214868480
	.fill 96, 4, 3214868480
	.type	__hip_cuid_97e9c710abe0e2a4,@object ; @__hip_cuid_97e9c710abe0e2a4
	.section	.bss,"aw",@nobits
	.globl	__hip_cuid_97e9c710abe0e2a4
__hip_cuid_97e9c710abe0e2a4:
	.byte	0                               ; 0x0
	.size	__hip_cuid_97e9c710abe0e2a4, 1

	.ident	"AMD clang version 19.0.0git (https://github.com/RadeonOpenCompute/llvm-project roc-6.4.0 25133 c7fe45cf4b819c5991fe208aaa96edf142730f1d)"
	.section	".note.GNU-stack","",@progbits
	.addrsig
	.addrsig_sym __hip_cuid_97e9c710abe0e2a4
	.amdgpu_metadata
---
amdhsa.kernels:
  - .args:
      - .address_space:  global
        .offset:         0
        .size:           8
        .value_kind:     global_buffer
      - .address_space:  global
        .offset:         8
        .size:           8
        .value_kind:     global_buffer
      - .address_space:  global
        .offset:         16
        .size:           8
        .value_kind:     global_buffer
    .group_segment_fixed_size: 0
    .kernarg_segment_align: 8
    .kernarg_segment_size: 24
    .language:       OpenCL C
    .language_version:
      - 2
      - 0
    .max_flat_workgroup_size: 1024
    .name:           wmma_matmul
    .private_segment_fixed_size: 0
    .sgpr_count:     8
    .sgpr_spill_count: 0
    .symbol:         wmma_matmul.kd
    .uniform_work_group_size: 1
    .uses_dynamic_stack: false
    .vgpr_count:     33
    .vgpr_spill_count: 0
    .wavefront_size: 32
    .workgroup_processor_mode: 1
amdhsa.target:   amdgcn-amd-amdhsa--gfx1100
amdhsa.version:
  - 1
  - 2
...

	.end_amdgpu_metadata
